;; amdgpu-corpus repo=ROCm/rocFFT kind=compiled arch=gfx1100 opt=O3
	.text
	.amdgcn_target "amdgcn-amd-amdhsa--gfx1100"
	.amdhsa_code_object_version 6
	.protected	bluestein_single_back_len1152_dim1_dp_op_CI_CI ; -- Begin function bluestein_single_back_len1152_dim1_dp_op_CI_CI
	.globl	bluestein_single_back_len1152_dim1_dp_op_CI_CI
	.p2align	8
	.type	bluestein_single_back_len1152_dim1_dp_op_CI_CI,@function
bluestein_single_back_len1152_dim1_dp_op_CI_CI: ; @bluestein_single_back_len1152_dim1_dp_op_CI_CI
; %bb.0:
	s_load_b128 s[16:19], s[0:1], 0x28
	v_mul_u32_u24_e32 v1, 0x1c8, v0
	s_mov_b32 s2, exec_lo
	v_mov_b32_e32 v153, 0
	s_delay_alu instid0(VALU_DEP_2) | instskip(NEXT) | instid1(VALU_DEP_1)
	v_lshrrev_b32_e32 v1, 16, v1
	v_add_nc_u32_e32 v152, s15, v1
	s_waitcnt lgkmcnt(0)
	s_delay_alu instid0(VALU_DEP_1)
	v_cmpx_gt_u64_e64 s[16:17], v[152:153]
	s_cbranch_execz .LBB0_18
; %bb.1:
	s_clause 0x1
	s_load_b128 s[4:7], s[0:1], 0x18
	s_load_b128 s[8:11], s[0:1], 0x0
	v_mul_lo_u16 v1, 0x90, v1
	s_delay_alu instid0(VALU_DEP_1) | instskip(NEXT) | instid1(VALU_DEP_1)
	v_sub_nc_u16 v32, v0, v1
	v_and_b32_e32 v153, 0xffff, v32
	s_waitcnt lgkmcnt(0)
	s_load_b128 s[12:15], s[4:5], 0x0
	s_waitcnt lgkmcnt(0)
	s_delay_alu instid0(VALU_DEP_1) | instskip(SKIP_3) | instid1(VALU_DEP_2)
	v_mad_u64_u32 v[8:9], null, s12, v153, 0
	v_mad_u64_u32 v[0:1], null, s14, v152, 0
	s_mul_hi_u32 s3, s12, 0x1200
	s_mul_i32 s4, s12, 0x1200
	v_mov_b32_e32 v2, v9
	s_delay_alu instid0(VALU_DEP_1) | instskip(NEXT) | instid1(VALU_DEP_1)
	v_mad_u64_u32 v[3:4], null, s15, v152, v[1:2]
	v_dual_mov_b32 v1, v3 :: v_dual_lshlrev_b32 v154, 4, v153
	v_mad_u64_u32 v[4:5], null, s13, v153, v[2:3]
	s_delay_alu instid0(VALU_DEP_2) | instskip(NEXT) | instid1(VALU_DEP_1)
	v_add_co_u32 v12, s2, s8, v154
	v_add_co_ci_u32_e64 v13, null, s9, 0, s2
	s_mul_i32 s2, s13, 0x1200
	v_lshlrev_b64 v[10:11], 4, v[0:1]
	s_add_i32 s3, s3, s2
	s_mul_i32 s2, s13, 0xffffd300
	s_delay_alu instid0(SALU_CYCLE_1) | instskip(SKIP_1) | instid1(VALU_DEP_2)
	s_sub_i32 s2, s2, s12
	v_mov_b32_e32 v9, v4
	v_add_co_u32 v10, vcc_lo, s18, v10
	v_add_co_ci_u32_e32 v11, vcc_lo, s19, v11, vcc_lo
	s_delay_alu instid0(VALU_DEP_3)
	v_lshlrev_b64 v[8:9], 4, v[8:9]
	s_clause 0x1
	global_load_b128 v[0:3], v154, s[8:9]
	global_load_b128 v[4:7], v154, s[8:9] offset:2304
	v_add_co_u32 v24, vcc_lo, v10, v8
	v_add_co_ci_u32_e32 v25, vcc_lo, v11, v9, vcc_lo
	s_delay_alu instid0(VALU_DEP_2) | instskip(NEXT) | instid1(VALU_DEP_2)
	v_add_co_u32 v26, vcc_lo, v24, s4
	v_add_co_ci_u32_e32 v27, vcc_lo, s3, v25, vcc_lo
	v_add_co_u32 v28, vcc_lo, 0x2000, v12
	v_add_co_ci_u32_e32 v29, vcc_lo, 0, v13, vcc_lo
	s_delay_alu instid0(VALU_DEP_4) | instskip(NEXT) | instid1(VALU_DEP_4)
	v_add_co_u32 v30, vcc_lo, v26, s4
	v_add_co_ci_u32_e32 v31, vcc_lo, s3, v27, vcc_lo
	v_add_co_u32 v61, vcc_lo, 0x3000, v12
	v_add_co_ci_u32_e32 v62, vcc_lo, 0, v13, vcc_lo
	s_delay_alu instid0(VALU_DEP_4) | instskip(NEXT) | instid1(VALU_DEP_4)
	v_add_co_u32 v45, vcc_lo, v30, s4
	v_add_co_ci_u32_e32 v46, vcc_lo, s3, v31, vcc_lo
	v_add_co_u32 v20, vcc_lo, 0x1000, v12
	v_add_co_ci_u32_e32 v21, vcc_lo, 0, v13, vcc_lo
	s_delay_alu instid0(VALU_DEP_3)
	v_mad_u64_u32 v[49:50], null, 0xffffd300, s12, v[45:46]
	s_clause 0x3
	global_load_b128 v[8:11], v[28:29], off offset:1024
	global_load_b128 v[12:15], v[61:62], off offset:1536
	;; [unrolled: 1-line block ×4, first 2 shown]
	s_clause 0x3
	global_load_b128 v[33:36], v[24:25], off
	global_load_b128 v[37:40], v[26:27], off
	;; [unrolled: 1-line block ×4, first 2 shown]
	v_add_nc_u32_e32 v50, s2, v50
	v_add_co_u32 v24, vcc_lo, v49, s4
	s_delay_alu instid0(VALU_DEP_2) | instskip(NEXT) | instid1(VALU_DEP_2)
	v_add_co_ci_u32_e32 v25, vcc_lo, s3, v50, vcc_lo
	v_add_co_u32 v30, vcc_lo, v24, s4
	global_load_b128 v[49:52], v[49:50], off
	v_add_co_ci_u32_e32 v31, vcc_lo, s3, v25, vcc_lo
	v_add_co_u32 v63, vcc_lo, v30, s4
	s_delay_alu instid0(VALU_DEP_2)
	v_add_co_ci_u32_e32 v64, vcc_lo, s3, v31, vcc_lo
	global_load_b128 v[53:56], v[24:25], off
	global_load_b128 v[24:27], v[28:29], off offset:3328
	global_load_b128 v[57:60], v[30:31], off
	global_load_b128 v[28:31], v[61:62], off offset:3840
	global_load_b128 v[61:64], v[63:64], off
	s_load_b128 s[4:7], s[6:7], 0x0
	s_load_b64 s[2:3], s[0:1], 0x38
	v_cmp_gt_u16_e32 vcc_lo, 0x60, v32
	s_waitcnt vmcnt(9)
	v_mul_f64 v[65:66], v[35:36], v[2:3]
	v_mul_f64 v[67:68], v[33:34], v[2:3]
	s_waitcnt vmcnt(8)
	v_mul_f64 v[69:70], v[39:40], v[18:19]
	v_mul_f64 v[71:72], v[37:38], v[18:19]
	;; [unrolled: 3-line block ×8, first 2 shown]
	v_fma_f64 v[33:34], v[33:34], v[0:1], v[65:66]
	v_fma_f64 v[35:36], v[35:36], v[0:1], -v[67:68]
	v_fma_f64 v[37:38], v[37:38], v[16:17], v[69:70]
	v_fma_f64 v[39:40], v[39:40], v[16:17], -v[71:72]
	;; [unrolled: 2-line block ×8, first 2 shown]
	ds_store_b128 v154, v[33:36]
	ds_store_b128 v154, v[49:52] offset:2304
	ds_store_b128 v154, v[37:40] offset:4608
	;; [unrolled: 1-line block ×7, first 2 shown]
	s_waitcnt lgkmcnt(0)
	s_barrier
	buffer_gl0_inv
	ds_load_b128 v[33:36], v154 offset:9216
	ds_load_b128 v[37:40], v154
	ds_load_b128 v[41:44], v154 offset:4608
	ds_load_b128 v[45:48], v154 offset:13824
	;; [unrolled: 1-line block ×6, first 2 shown]
	s_waitcnt lgkmcnt(0)
	s_barrier
	buffer_gl0_inv
	v_add_f64 v[65:66], v[37:38], -v[33:34]
	v_add_f64 v[67:68], v[39:40], -v[35:36]
	v_add_f64 v[35:36], v[41:42], -v[45:46]
	v_add_f64 v[33:34], v[43:44], -v[47:48]
	v_add_f64 v[69:70], v[49:50], -v[53:54]
	v_add_f64 v[71:72], v[51:52], -v[55:56]
	v_add_f64 v[54:55], v[57:58], -v[61:62]
	v_add_f64 v[45:46], v[59:60], -v[63:64]
	v_fma_f64 v[37:38], v[37:38], 2.0, -v[65:66]
	v_fma_f64 v[62:63], v[39:40], 2.0, -v[67:68]
	;; [unrolled: 1-line block ×8, first 2 shown]
	v_add_f64 v[52:53], v[69:70], -v[45:46]
	v_add_f64 v[33:34], v[65:66], -v[33:34]
	v_add_f64 v[35:36], v[67:68], v[35:36]
	v_add_f64 v[54:55], v[71:72], v[54:55]
	v_add_f64 v[44:45], v[37:38], -v[39:40]
	v_add_f64 v[46:47], v[62:63], -v[41:42]
	;; [unrolled: 1-line block ×4, first 2 shown]
	v_fma_f64 v[56:57], v[69:70], 2.0, -v[52:53]
	v_fma_f64 v[48:49], v[65:66], 2.0, -v[33:34]
	;; [unrolled: 1-line block ×6, first 2 shown]
	v_lshlrev_b16 v37, 2, v32
	v_fma_f64 v[64:65], v[73:74], 2.0, -v[40:41]
	v_fma_f64 v[66:67], v[75:76], 2.0, -v[42:43]
	v_add_co_u32 v76, s12, 0x90, v153
	s_delay_alu instid0(VALU_DEP_4) | instskip(SKIP_1) | instid1(VALU_DEP_3)
	v_and_b32_e32 v37, 0xffff, v37
	v_add_co_ci_u32_e64 v38, null, 0, 0, s12
	v_lshlrev_b32_e32 v129, 6, v76
                                        ; implicit-def: $vgpr72_vgpr73
	s_delay_alu instid0(VALU_DEP_3)
	v_lshlrev_b32_e32 v128, 4, v37
	ds_store_b128 v128, v[44:47] offset:32
	ds_store_b128 v128, v[33:36] offset:48
	ds_store_b128 v129, v[40:43] offset:32
	ds_store_b128 v129, v[52:55] offset:48
	ds_store_b128 v128, v[60:63]
	ds_store_b128 v128, v[48:51] offset:16
	ds_store_b128 v129, v[64:67]
	ds_store_b128 v129, v[56:59] offset:16
	s_waitcnt lgkmcnt(0)
	s_barrier
	buffer_gl0_inv
	ds_load_b128 v[48:51], v154
	ds_load_b128 v[44:47], v154 offset:2304
	ds_load_b128 v[64:67], v154 offset:6144
	;; [unrolled: 1-line block ×5, first 2 shown]
	s_and_saveexec_b32 s0, vcc_lo
	s_cbranch_execz .LBB0_3
; %bb.2:
	ds_load_b128 v[40:43], v154 offset:4608
	ds_load_b128 v[52:55], v154 offset:10752
	;; [unrolled: 1-line block ×3, first 2 shown]
.LBB0_3:
	s_or_b32 exec_lo, exec_lo, s0
	v_and_b32_e32 v155, 3, v153
	s_mov_b32 s0, 0xe8584caa
	s_mov_b32 s1, 0x3febb67a
	;; [unrolled: 1-line block ×4, first 2 shown]
	v_lshlrev_b32_e32 v32, 5, v155
	s_clause 0x1
	global_load_b128 v[36:39], v32, s[10:11]
	global_load_b128 v[32:35], v32, s[10:11] offset:16
	s_waitcnt vmcnt(0) lgkmcnt(0)
	s_barrier
	buffer_gl0_inv
	v_mul_f64 v[77:78], v[66:67], v[38:39]
	v_mul_f64 v[79:80], v[64:65], v[38:39]
	;; [unrolled: 1-line block ×12, first 2 shown]
	v_fma_f64 v[64:65], v[64:65], v[36:37], -v[77:78]
	v_fma_f64 v[66:67], v[66:67], v[36:37], v[79:80]
	v_fma_f64 v[68:69], v[68:69], v[32:33], -v[81:82]
	v_fma_f64 v[70:71], v[70:71], v[32:33], v[83:84]
	;; [unrolled: 2-line block ×6, first 2 shown]
	v_add_f64 v[89:90], v[48:49], v[64:65]
	v_add_f64 v[60:61], v[64:65], v[68:69]
	v_add_f64 v[62:63], v[66:67], v[70:71]
	v_add_f64 v[91:92], v[66:67], -v[70:71]
	v_add_f64 v[66:67], v[50:51], v[66:67]
	v_add_f64 v[72:73], v[77:78], v[81:82]
	;; [unrolled: 1-line block ×3, first 2 shown]
	v_add_f64 v[93:94], v[64:65], -v[68:69]
	v_add_f64 v[64:65], v[44:45], v[77:78]
	v_add_f64 v[85:86], v[56:57], v[52:53]
	;; [unrolled: 1-line block ×4, first 2 shown]
	v_add_f64 v[99:100], v[79:80], -v[83:84]
	v_add_f64 v[101:102], v[77:78], -v[81:82]
	v_fma_f64 v[97:98], v[60:61], -0.5, v[48:49]
	v_fma_f64 v[79:80], v[62:63], -0.5, v[50:51]
	v_add_f64 v[48:49], v[58:59], -v[54:55]
	v_add_f64 v[50:51], v[56:57], -v[52:53]
	v_fma_f64 v[103:104], v[72:73], -0.5, v[44:45]
	v_fma_f64 v[73:74], v[74:75], -0.5, v[46:47]
	v_add_f64 v[60:61], v[89:90], v[68:69]
	v_add_f64 v[62:63], v[66:67], v[70:71]
	v_fma_f64 v[44:45], v[85:86], -0.5, v[40:41]
	v_fma_f64 v[46:47], v[87:88], -0.5, v[42:43]
	v_add_f64 v[66:67], v[95:96], v[83:84]
	v_add_f64 v[64:65], v[64:65], v[81:82]
	v_lshrrev_b32_e32 v68, 2, v153
	v_fma_f64 v[69:70], v[91:92], s[0:1], v[97:98]
	v_fma_f64 v[77:78], v[91:92], s[12:13], v[97:98]
	;; [unrolled: 1-line block ×10, first 2 shown]
	v_lshrrev_b32_e32 v73, 2, v76
	v_mul_u32_u24_e32 v74, 12, v68
	v_add_co_u32 v68, null, 0x120, v153
	s_delay_alu instid0(VALU_DEP_3) | instskip(NEXT) | instid1(VALU_DEP_3)
	v_mul_u32_u24_e32 v73, 12, v73
	v_or_b32_e32 v74, v74, v155
	s_delay_alu instid0(VALU_DEP_3) | instskip(NEXT) | instid1(VALU_DEP_3)
	v_lshrrev_b32_e32 v156, 2, v68
	v_or_b32_e32 v73, v73, v155
	s_delay_alu instid0(VALU_DEP_3) | instskip(NEXT) | instid1(VALU_DEP_2)
	v_lshlrev_b32_e32 v158, 4, v74
	v_lshlrev_b32_e32 v157, 4, v73
	ds_store_b128 v158, v[60:63]
	ds_store_b128 v158, v[69:72] offset:64
	ds_store_b128 v158, v[77:80] offset:128
	ds_store_b128 v157, v[64:67]
	ds_store_b128 v157, v[81:84] offset:64
	ds_store_b128 v157, v[85:88] offset:128
	s_and_saveexec_b32 s12, vcc_lo
	s_cbranch_execz .LBB0_5
; %bb.4:
	v_mul_f64 v[50:51], v[50:51], s[0:1]
	v_add_f64 v[58:59], v[42:43], v[58:59]
	v_add_f64 v[40:41], v[40:41], v[56:57]
	v_mul_f64 v[56:57], v[48:49], s[0:1]
	s_delay_alu instid0(VALU_DEP_4) | instskip(NEXT) | instid1(VALU_DEP_4)
	v_add_f64 v[42:43], v[46:47], -v[50:51]
	v_add_f64 v[48:49], v[58:59], v[54:55]
	s_delay_alu instid0(VALU_DEP_4) | instskip(NEXT) | instid1(VALU_DEP_4)
	v_add_f64 v[46:47], v[40:41], v[52:53]
	v_add_f64 v[40:41], v[56:57], v[44:45]
	v_mul_u32_u24_e32 v44, 12, v156
	s_delay_alu instid0(VALU_DEP_1) | instskip(NEXT) | instid1(VALU_DEP_1)
	v_or_b32_e32 v44, v44, v155
	v_lshlrev_b32_e32 v44, 4, v44
	ds_store_b128 v44, v[46:49]
	ds_store_b128 v44, v[40:43] offset:64
	ds_store_b128 v44, v[92:95] offset:128
.LBB0_5:
	s_or_b32 exec_lo, exec_lo, s12
	v_and_b32_e32 v40, 0xff, v153
	s_waitcnt lgkmcnt(0)
	s_barrier
	buffer_gl0_inv
	s_mov_b32 s0, 0x667f3bcd
	v_mul_lo_u16 v40, 0xab, v40
	s_mov_b32 s1, 0xbfe6a09e
	s_mov_b32 s13, 0x3fe6a09e
	;; [unrolled: 1-line block ×3, first 2 shown]
	s_delay_alu instid0(VALU_DEP_1) | instskip(NEXT) | instid1(VALU_DEP_1)
	v_lshrrev_b16 v75, 11, v40
	v_mul_lo_u16 v40, v75, 12
	s_delay_alu instid0(VALU_DEP_1) | instskip(NEXT) | instid1(VALU_DEP_1)
	v_sub_nc_u16 v40, v153, v40
	v_and_b32_e32 v91, 0xff, v40
	s_delay_alu instid0(VALU_DEP_1)
	v_mad_u64_u32 v[56:57], null, 0x70, v91, s[10:11]
	s_clause 0x6
	global_load_b128 v[48:51], v[56:57], off offset:128
	global_load_b128 v[44:47], v[56:57], off offset:144
	;; [unrolled: 1-line block ×7, first 2 shown]
	ds_load_b128 v[69:72], v154 offset:2304
	ds_load_b128 v[77:80], v154 offset:4608
	;; [unrolled: 1-line block ×7, first 2 shown]
	s_waitcnt vmcnt(6) lgkmcnt(6)
	v_mul_f64 v[73:74], v[71:72], v[50:51]
	v_mul_f64 v[89:90], v[69:70], v[50:51]
	s_waitcnt vmcnt(5) lgkmcnt(5)
	v_mul_f64 v[108:109], v[79:80], v[46:47]
	v_mul_f64 v[110:111], v[77:78], v[46:47]
	;; [unrolled: 3-line block ×7, first 2 shown]
	v_fma_f64 v[73:74], v[69:70], v[48:49], -v[73:74]
	v_fma_f64 v[89:90], v[71:72], v[48:49], v[89:90]
	v_fma_f64 v[77:78], v[77:78], v[44:45], -v[108:109]
	v_fma_f64 v[79:80], v[79:80], v[44:45], v[110:111]
	;; [unrolled: 2-line block ×7, first 2 shown]
	ds_load_b128 v[69:72], v154
	s_waitcnt lgkmcnt(0)
	s_barrier
	buffer_gl0_inv
	v_add_f64 v[81:82], v[69:70], -v[81:82]
	v_add_f64 v[83:84], v[71:72], -v[83:84]
	;; [unrolled: 1-line block ×8, first 2 shown]
	v_fma_f64 v[69:70], v[69:70], 2.0, -v[81:82]
	v_fma_f64 v[71:72], v[71:72], 2.0, -v[83:84]
	;; [unrolled: 1-line block ×6, first 2 shown]
	v_add_f64 v[112:113], v[83:84], v[85:86]
	v_add_f64 v[87:88], v[81:82], -v[87:88]
	v_fma_f64 v[85:86], v[100:101], 2.0, -v[104:105]
	v_fma_f64 v[100:101], v[102:103], 2.0, -v[106:107]
	v_add_f64 v[102:103], v[96:97], -v[106:107]
	v_add_f64 v[104:105], v[98:99], v[104:105]
	v_add_f64 v[106:107], v[69:70], -v[77:78]
	v_add_f64 v[114:115], v[71:72], -v[79:80]
	v_fma_f64 v[118:119], v[83:84], 2.0, -v[112:113]
	v_fma_f64 v[116:117], v[81:82], 2.0, -v[87:88]
	v_add_f64 v[77:78], v[73:74], -v[85:86]
	v_add_f64 v[79:80], v[89:90], -v[100:101]
	v_fma_f64 v[81:82], v[96:97], 2.0, -v[102:103]
	v_fma_f64 v[83:84], v[98:99], 2.0, -v[104:105]
	v_fma_f64 v[85:86], v[102:103], s[12:13], v[87:88]
	v_fma_f64 v[100:101], v[104:105], s[12:13], v[112:113]
	v_fma_f64 v[120:121], v[69:70], 2.0, -v[106:107]
	v_fma_f64 v[122:123], v[71:72], 2.0, -v[114:115]
	;; [unrolled: 1-line block ×4, first 2 shown]
	v_fma_f64 v[73:74], v[81:82], s[0:1], v[116:117]
	v_fma_f64 v[89:90], v[83:84], s[0:1], v[118:119]
	v_add_f64 v[96:97], v[106:107], -v[79:80]
	v_add_f64 v[98:99], v[114:115], v[77:78]
	v_fma_f64 v[108:109], v[104:105], s[0:1], v[85:86]
	v_fma_f64 v[110:111], v[102:103], s[12:13], v[100:101]
	v_add_f64 v[69:70], v[120:121], -v[69:70]
	v_add_f64 v[71:72], v[122:123], -v[71:72]
	v_fma_f64 v[77:78], v[83:84], s[0:1], v[73:74]
	v_fma_f64 v[79:80], v[81:82], s[12:13], v[89:90]
	v_fma_f64 v[81:82], v[106:107], 2.0, -v[96:97]
	v_fma_f64 v[83:84], v[114:115], 2.0, -v[98:99]
	;; [unrolled: 1-line block ×4, first 2 shown]
	v_and_b32_e32 v73, 0xffff, v75
	s_delay_alu instid0(VALU_DEP_1) | instskip(NEXT) | instid1(VALU_DEP_1)
	v_mul_u32_u24_e32 v73, 0x60, v73
	v_or_b32_e32 v73, v73, v91
	s_delay_alu instid0(VALU_DEP_1)
	v_lshlrev_b32_e32 v159, 4, v73
	v_fma_f64 v[100:101], v[120:121], 2.0, -v[69:70]
	v_fma_f64 v[102:103], v[122:123], 2.0, -v[71:72]
	;; [unrolled: 1-line block ×4, first 2 shown]
	ds_store_b128 v159, v[96:99] offset:1152
	ds_store_b128 v159, v[108:111] offset:1344
	;; [unrolled: 1-line block ×6, first 2 shown]
	ds_store_b128 v159, v[100:103]
	ds_store_b128 v159, v[104:107] offset:192
	s_waitcnt lgkmcnt(0)
	s_barrier
	buffer_gl0_inv
	ds_load_b128 v[104:107], v154
	ds_load_b128 v[100:103], v154 offset:2304
	ds_load_b128 v[120:123], v154 offset:6144
	;; [unrolled: 1-line block ×5, first 2 shown]
	s_and_saveexec_b32 s0, vcc_lo
	s_cbranch_execz .LBB0_7
; %bb.6:
	ds_load_b128 v[96:99], v154 offset:4608
	ds_load_b128 v[108:111], v154 offset:10752
	;; [unrolled: 1-line block ×3, first 2 shown]
.LBB0_7:
	s_or_b32 exec_lo, exec_lo, s0
	v_add_co_u32 v71, s0, 0xffffffa0, v153
	v_and_b32_e32 v69, 0xffff, v76
	v_and_b32_e32 v70, 0xffff, v68
	v_add_co_ci_u32_e64 v72, null, 0, -1, s0
	s_delay_alu instid0(VALU_DEP_4) | instskip(NEXT) | instid1(VALU_DEP_4)
	v_cndmask_b32_e32 v142, v71, v153, vcc_lo
	v_mul_u32_u24_e32 v69, 0xaaab, v69
	s_delay_alu instid0(VALU_DEP_4) | instskip(NEXT) | instid1(VALU_DEP_4)
	v_mul_u32_u24_e32 v70, 0xaaab, v70
	v_cndmask_b32_e64 v143, v72, 0, vcc_lo
	s_mov_b32 s12, 0xe8584caa
	s_mov_b32 s13, 0x3febb67a
	v_lshrrev_b32_e32 v151, 22, v69
	v_lshrrev_b32_e32 v69, 22, v70
	s_mov_b32 s1, 0xbfebb67a
	s_delay_alu instid0(VALU_DEP_2) | instskip(NEXT) | instid1(VALU_DEP_2)
	v_mul_lo_u16 v70, 0x60, v151
	v_mul_lo_u16 v71, 0x60, v69
	s_delay_alu instid0(VALU_DEP_2) | instskip(SKIP_1) | instid1(VALU_DEP_3)
	v_sub_nc_u16 v168, v76, v70
	v_lshlrev_b64 v[69:70], 5, v[142:143]
	v_sub_nc_u16 v169, v68, v71
	s_delay_alu instid0(VALU_DEP_3) | instskip(NEXT) | instid1(VALU_DEP_3)
	v_lshlrev_b16 v71, 5, v168
	v_add_co_u32 v68, s0, s10, v69
	s_delay_alu instid0(VALU_DEP_1) | instskip(NEXT) | instid1(VALU_DEP_4)
	v_add_co_ci_u32_e64 v69, s0, s11, v70, s0
	v_lshlrev_b16 v70, 5, v169
	s_delay_alu instid0(VALU_DEP_4)
	v_and_b32_e32 v71, 0xffff, v71
	s_clause 0x1
	global_load_b128 v[76:79], v[68:69], off offset:1488
	global_load_b128 v[80:83], v[68:69], off offset:1472
	v_and_b32_e32 v70, 0xffff, v70
	v_add_co_u32 v68, s0, s10, v71
	s_delay_alu instid0(VALU_DEP_1) | instskip(NEXT) | instid1(VALU_DEP_3)
	v_add_co_ci_u32_e64 v69, null, s11, 0, s0
	v_add_co_u32 v70, s0, s10, v70
	s_delay_alu instid0(VALU_DEP_1)
	v_add_co_ci_u32_e64 v71, null, s11, 0, s0
	s_clause 0x3
	global_load_b128 v[88:91], v[68:69], off offset:1472
	global_load_b128 v[84:87], v[68:69], off offset:1488
	;; [unrolled: 1-line block ×4, first 2 shown]
	s_mov_b32 s0, s12
	s_waitcnt vmcnt(0) lgkmcnt(0)
	s_barrier
	buffer_gl0_inv
	v_mul_f64 v[134:135], v[126:127], v[78:79]
	v_mul_f64 v[130:131], v[122:123], v[82:83]
	;; [unrolled: 1-line block ×12, first 2 shown]
	v_fma_f64 v[124:125], v[124:125], v[76:77], -v[134:135]
	v_fma_f64 v[120:121], v[120:121], v[80:81], -v[130:131]
	v_fma_f64 v[122:123], v[122:123], v[80:81], v[132:133]
	v_fma_f64 v[126:127], v[126:127], v[76:77], v[136:137]
	v_fma_f64 v[112:113], v[112:113], v[88:89], -v[138:139]
	v_fma_f64 v[114:115], v[114:115], v[88:89], v[140:141]
	v_fma_f64 v[116:117], v[116:117], v[84:85], -v[143:144]
	;; [unrolled: 2-line block ×4, first 2 shown]
	v_fma_f64 v[94:95], v[94:95], v[68:69], v[162:163]
	v_add_f64 v[130:131], v[120:121], v[124:125]
	v_add_f64 v[143:144], v[104:105], v[120:121]
	;; [unrolled: 1-line block ×3, first 2 shown]
	v_add_f64 v[145:146], v[122:123], -v[126:127]
	v_add_f64 v[122:123], v[106:107], v[122:123]
	v_add_f64 v[147:148], v[120:121], -v[124:125]
	v_add_f64 v[120:121], v[100:101], v[112:113]
	v_add_f64 v[149:150], v[102:103], v[114:115]
	;; [unrolled: 1-line block ×4, first 2 shown]
	v_add_f64 v[160:161], v[114:115], -v[118:119]
	v_add_f64 v[162:163], v[112:113], -v[116:117]
	v_add_f64 v[138:139], v[108:109], v[92:93]
	v_add_f64 v[140:141], v[110:111], v[94:95]
	v_fma_f64 v[130:131], v[130:131], -0.5, v[104:105]
	v_add_f64 v[104:105], v[110:111], -v[94:95]
	v_fma_f64 v[132:133], v[132:133], -0.5, v[106:107]
	v_add_f64 v[106:107], v[108:109], -v[92:93]
	v_add_f64 v[112:113], v[143:144], v[124:125]
	v_add_f64 v[114:115], v[122:123], v[126:127]
	v_mad_u16 v143, 0x120, v151, v168
	v_add_f64 v[120:121], v[120:121], v[116:117]
	v_add_f64 v[122:123], v[149:150], v[118:119]
	v_fma_f64 v[164:165], v[134:135], -0.5, v[100:101]
	v_fma_f64 v[166:167], v[136:137], -0.5, v[102:103]
	v_and_b32_e32 v143, 0xffff, v143
	v_fma_f64 v[100:101], v[138:139], -0.5, v[96:97]
	v_fma_f64 v[102:103], v[140:141], -0.5, v[98:99]
	v_fma_f64 v[124:125], v[145:146], s[12:13], v[130:131]
	v_fma_f64 v[130:131], v[145:146], s[0:1], v[130:131]
	v_fma_f64 v[126:127], v[147:148], s[0:1], v[132:133]
	v_fma_f64 v[132:133], v[147:148], s[12:13], v[132:133]
	v_fma_f64 v[134:135], v[160:161], s[12:13], v[164:165]
	v_fma_f64 v[136:137], v[162:163], s[0:1], v[166:167]
	v_fma_f64 v[138:139], v[160:161], s[0:1], v[164:165]
	v_fma_f64 v[140:141], v[162:163], s[12:13], v[166:167]
	v_fma_f64 v[116:117], v[104:105], s[0:1], v[100:101]
	v_fma_f64 v[118:119], v[106:107], s[12:13], v[102:103]
	v_cmp_lt_u16_e64 s0, 0x5f, v153
	v_and_b32_e32 v160, 0xffff, v169
	v_lshlrev_b32_e32 v162, 4, v143
	s_delay_alu instid0(VALU_DEP_3) | instskip(NEXT) | instid1(VALU_DEP_1)
	v_cndmask_b32_e64 v144, 0, 0x120, s0
	v_add_lshl_u32 v161, v142, v144, 4
	ds_store_b128 v161, v[112:115]
	ds_store_b128 v161, v[124:127] offset:1536
	ds_store_b128 v161, v[130:133] offset:3072
	ds_store_b128 v162, v[120:123]
	ds_store_b128 v162, v[134:137] offset:1536
	ds_store_b128 v162, v[138:141] offset:3072
	s_and_saveexec_b32 s0, vcc_lo
	s_cbranch_execz .LBB0_9
; %bb.8:
	v_mul_f64 v[106:107], v[106:107], s[12:13]
	v_add_f64 v[98:99], v[98:99], v[110:111]
	v_add_f64 v[108:109], v[96:97], v[108:109]
	v_mul_f64 v[110:111], v[104:105], s[12:13]
	s_delay_alu instid0(VALU_DEP_4) | instskip(NEXT) | instid1(VALU_DEP_4)
	v_add_f64 v[96:97], v[102:103], -v[106:107]
	v_add_f64 v[104:105], v[98:99], v[94:95]
	s_delay_alu instid0(VALU_DEP_4) | instskip(NEXT) | instid1(VALU_DEP_4)
	v_add_f64 v[102:103], v[108:109], v[92:93]
	v_add_f64 v[94:95], v[110:111], v[100:101]
	v_lshlrev_b32_e32 v92, 4, v160
	ds_store_b128 v92, v[102:105] offset:13824
	ds_store_b128 v92, v[94:97] offset:15360
	;; [unrolled: 1-line block ×3, first 2 shown]
.LBB0_9:
	s_or_b32 exec_lo, exec_lo, s0
	v_mad_u64_u32 v[100:101], null, v153, 48, s[10:11]
	s_waitcnt lgkmcnt(0)
	s_barrier
	buffer_gl0_inv
	v_add_co_u32 v92, s0, 0x1000, v100
	s_delay_alu instid0(VALU_DEP_1) | instskip(SKIP_1) | instid1(VALU_DEP_1)
	v_add_co_ci_u32_e64 v93, s0, 0, v101, s0
	v_add_co_u32 v102, s0, 0x11c0, v100
	v_add_co_ci_u32_e64 v103, s0, 0, v101, s0
	v_add_co_u32 v104, s0, 0x2000, v100
	s_delay_alu instid0(VALU_DEP_1) | instskip(SKIP_1) | instid1(VALU_DEP_1)
	v_add_co_ci_u32_e64 v105, s0, 0, v101, s0
	v_add_co_u32 v108, s0, 0x2cc0, v100
	v_add_co_ci_u32_e64 v109, s0, 0, v101, s0
	s_clause 0x5
	global_load_b128 v[92:95], v[92:93], off offset:448
	global_load_b128 v[96:99], v[102:103], off offset:16
	;; [unrolled: 1-line block ×6, first 2 shown]
	ds_load_b128 v[120:123], v154 offset:4608
	ds_load_b128 v[124:127], v154 offset:9216
	;; [unrolled: 1-line block ×6, first 2 shown]
	s_waitcnt vmcnt(3) lgkmcnt(3)
	v_mul_f64 v[165:166], v[132:133], v[102:103]
	v_mul_f64 v[146:147], v[122:123], v[94:95]
	;; [unrolled: 1-line block ×6, first 2 shown]
	s_waitcnt vmcnt(2) lgkmcnt(2)
	v_mul_f64 v[169:170], v[136:137], v[106:107]
	v_mul_f64 v[171:172], v[134:135], v[106:107]
	s_waitcnt vmcnt(1) lgkmcnt(1)
	v_mul_f64 v[173:174], v[140:141], v[114:115]
	v_mul_f64 v[175:176], v[138:139], v[114:115]
	;; [unrolled: 3-line block ×3, first 2 shown]
	v_fma_f64 v[130:131], v[130:131], v[100:101], -v[165:166]
	v_fma_f64 v[146:147], v[120:121], v[92:93], -v[146:147]
	v_fma_f64 v[148:149], v[122:123], v[92:93], v[148:149]
	v_fma_f64 v[150:151], v[124:125], v[96:97], -v[150:151]
	v_fma_f64 v[163:164], v[126:127], v[96:97], v[163:164]
	v_fma_f64 v[132:133], v[132:133], v[100:101], v[167:168]
	v_fma_f64 v[134:135], v[134:135], v[104:105], -v[169:170]
	v_fma_f64 v[136:137], v[136:137], v[104:105], v[171:172]
	v_fma_f64 v[138:139], v[138:139], v[112:113], -v[173:174]
	;; [unrolled: 2-line block ×3, first 2 shown]
	v_fma_f64 v[144:145], v[144:145], v[108:109], v[179:180]
	ds_load_b128 v[120:123], v154
	ds_load_b128 v[124:127], v154 offset:2304
	v_add_f64 v[130:131], v[146:147], -v[130:131]
	s_waitcnt lgkmcnt(1)
	v_add_f64 v[150:151], v[120:121], -v[150:151]
	v_add_f64 v[163:164], v[122:123], -v[163:164]
	;; [unrolled: 1-line block ×3, first 2 shown]
	s_waitcnt lgkmcnt(0)
	v_add_f64 v[165:166], v[124:125], -v[138:139]
	v_add_f64 v[167:168], v[126:127], -v[140:141]
	;; [unrolled: 1-line block ×4, first 2 shown]
	v_fma_f64 v[142:143], v[146:147], 2.0, -v[130:131]
	v_fma_f64 v[169:170], v[120:121], 2.0, -v[150:151]
	;; [unrolled: 1-line block ×4, first 2 shown]
	v_add_f64 v[120:121], v[150:151], -v[132:133]
	v_add_f64 v[122:123], v[163:164], v[130:131]
	v_fma_f64 v[173:174], v[124:125], 2.0, -v[165:166]
	v_fma_f64 v[175:176], v[126:127], 2.0, -v[167:168]
	;; [unrolled: 1-line block ×4, first 2 shown]
	v_add_f64 v[124:125], v[165:166], -v[140:141]
	v_add_f64 v[126:127], v[167:168], v[138:139]
	v_add_f64 v[130:131], v[169:170], -v[142:143]
	v_add_f64 v[132:133], v[171:172], -v[144:145]
	v_fma_f64 v[138:139], v[150:151], 2.0, -v[120:121]
	v_fma_f64 v[140:141], v[163:164], 2.0, -v[122:123]
	v_lshlrev_b32_e32 v150, 4, v153
	v_add_f64 v[134:135], v[173:174], -v[134:135]
	v_add_f64 v[136:137], v[175:176], -v[136:137]
	v_fma_f64 v[142:143], v[165:166], 2.0, -v[124:125]
	v_fma_f64 v[144:145], v[167:168], 2.0, -v[126:127]
	;; [unrolled: 1-line block ×6, first 2 shown]
	v_add_co_u32 v175, s0, s8, v150
	s_delay_alu instid0(VALU_DEP_1)
	v_add_co_ci_u32_e64 v176, null, s9, 0, s0
	ds_store_b128 v154, v[120:123] offset:13824
	ds_store_b128 v154, v[124:127] offset:16128
	;; [unrolled: 1-line block ×6, first 2 shown]
	ds_store_b128 v154, v[146:149]
	ds_store_b128 v154, v[163:166] offset:2304
	v_add_co_u32 v150, s0, 0x4800, v175
	s_delay_alu instid0(VALU_DEP_1) | instskip(SKIP_1) | instid1(VALU_DEP_1)
	v_add_co_ci_u32_e64 v151, s0, 0, v176, s0
	v_add_co_u32 v167, s0, 0x4000, v175
	v_add_co_ci_u32_e64 v168, s0, 0, v176, s0
	v_add_co_u32 v169, s0, 0x5000, v175
	s_delay_alu instid0(VALU_DEP_1) | instskip(SKIP_1) | instid1(VALU_DEP_1)
	v_add_co_ci_u32_e64 v170, s0, 0, v176, s0
	v_add_co_u32 v171, s0, 0x6000, v175
	v_add_co_ci_u32_e64 v172, s0, 0, v176, s0
	v_add_co_u32 v173, s0, 0x7000, v175
	s_delay_alu instid0(VALU_DEP_1)
	v_add_co_ci_u32_e64 v174, s0, 0, v176, s0
	s_waitcnt lgkmcnt(0)
	s_barrier
	buffer_gl0_inv
	s_clause 0x4
	global_load_b128 v[120:123], v[167:168], off offset:2048
	global_load_b128 v[124:127], v[169:170], off offset:2560
	;; [unrolled: 1-line block ×5, first 2 shown]
	v_add_co_u32 v150, s0, 0x8000, v175
	s_delay_alu instid0(VALU_DEP_1)
	v_add_co_ci_u32_e64 v151, s0, 0, v176, s0
	s_clause 0x2
	global_load_b128 v[142:145], v[171:172], off offset:768
	global_load_b128 v[146:149], v[173:174], off offset:1280
	;; [unrolled: 1-line block ×3, first 2 shown]
	ds_load_b128 v[167:170], v154
	ds_load_b128 v[171:174], v154 offset:4608
	ds_load_b128 v[175:178], v154 offset:9216
	;; [unrolled: 1-line block ×7, first 2 shown]
	s_waitcnt vmcnt(7) lgkmcnt(7)
	v_mul_f64 v[150:151], v[169:170], v[122:123]
	v_mul_f64 v[122:123], v[167:168], v[122:123]
	s_waitcnt vmcnt(6) lgkmcnt(6)
	v_mul_f64 v[199:200], v[173:174], v[126:127]
	v_mul_f64 v[126:127], v[171:172], v[126:127]
	;; [unrolled: 3-line block ×8, first 2 shown]
	v_fma_f64 v[148:149], v[167:168], v[120:121], -v[150:151]
	v_fma_f64 v[150:151], v[169:170], v[120:121], v[122:123]
	v_fma_f64 v[120:121], v[171:172], v[124:125], -v[199:200]
	v_fma_f64 v[122:123], v[173:174], v[124:125], v[126:127]
	;; [unrolled: 2-line block ×8, first 2 shown]
	ds_store_b128 v154, v[148:151]
	ds_store_b128 v154, v[134:137] offset:2304
	ds_store_b128 v154, v[120:123] offset:4608
	;; [unrolled: 1-line block ×7, first 2 shown]
	s_waitcnt lgkmcnt(0)
	s_barrier
	buffer_gl0_inv
	ds_load_b128 v[120:123], v154 offset:9216
	ds_load_b128 v[124:127], v154
	ds_load_b128 v[130:133], v154 offset:4608
	ds_load_b128 v[134:137], v154 offset:13824
	ds_load_b128 v[138:141], v154 offset:2304
	ds_load_b128 v[142:145], v154 offset:11520
	ds_load_b128 v[146:149], v154 offset:6912
	ds_load_b128 v[163:166], v154 offset:16128
	s_waitcnt lgkmcnt(0)
	s_barrier
	buffer_gl0_inv
	v_add_f64 v[150:151], v[124:125], -v[120:121]
	v_add_f64 v[167:168], v[126:127], -v[122:123]
	;; [unrolled: 1-line block ×8, first 2 shown]
	v_fma_f64 v[163:164], v[124:125], 2.0, -v[150:151]
	v_fma_f64 v[165:166], v[126:127], 2.0, -v[167:168]
	;; [unrolled: 1-line block ×8, first 2 shown]
	v_add_f64 v[124:125], v[150:151], v[122:123]
	v_add_f64 v[132:133], v[169:170], v[136:137]
	v_add_f64 v[126:127], v[167:168], -v[120:121]
	v_add_f64 v[134:135], v[171:172], -v[134:135]
	;; [unrolled: 1-line block ×6, first 2 shown]
	v_fma_f64 v[140:141], v[150:151], 2.0, -v[124:125]
	v_fma_f64 v[144:145], v[169:170], 2.0, -v[132:133]
	;; [unrolled: 1-line block ×8, first 2 shown]
	ds_store_b128 v128, v[136:139] offset:32
	ds_store_b128 v128, v[124:127] offset:48
	;; [unrolled: 1-line block ×4, first 2 shown]
	ds_store_b128 v128, v[148:151]
	ds_store_b128 v128, v[140:143] offset:16
	ds_store_b128 v129, v[163:166]
	ds_store_b128 v129, v[144:147] offset:16
	s_waitcnt lgkmcnt(0)
	s_barrier
	buffer_gl0_inv
	ds_load_b128 v[128:131], v154
	ds_load_b128 v[124:127], v154 offset:2304
	ds_load_b128 v[144:147], v154 offset:6144
	;; [unrolled: 1-line block ×5, first 2 shown]
	s_and_saveexec_b32 s0, vcc_lo
	s_cbranch_execz .LBB0_11
; %bb.10:
	ds_load_b128 v[120:123], v154 offset:4608
	ds_load_b128 v[132:135], v154 offset:10752
	;; [unrolled: 1-line block ×3, first 2 shown]
.LBB0_11:
	s_or_b32 exec_lo, exec_lo, s0
	s_waitcnt lgkmcnt(3)
	v_mul_f64 v[163:164], v[38:39], v[146:147]
	v_mul_f64 v[165:166], v[38:39], v[144:145]
	s_waitcnt lgkmcnt(1)
	v_mul_f64 v[167:168], v[34:35], v[150:151]
	v_mul_f64 v[169:170], v[34:35], v[148:149]
	;; [unrolled: 1-line block ×4, first 2 shown]
	s_waitcnt lgkmcnt(0)
	v_mul_f64 v[175:176], v[34:35], v[142:143]
	v_mul_f64 v[177:178], v[34:35], v[140:141]
	;; [unrolled: 1-line block ×6, first 2 shown]
	s_mov_b32 s8, 0xe8584caa
	s_mov_b32 s9, 0xbfebb67a
	;; [unrolled: 1-line block ×4, first 2 shown]
	s_barrier
	buffer_gl0_inv
	v_fma_f64 v[144:145], v[36:37], v[144:145], v[163:164]
	v_fma_f64 v[146:147], v[36:37], v[146:147], -v[165:166]
	v_fma_f64 v[148:149], v[32:33], v[148:149], v[167:168]
	v_fma_f64 v[150:151], v[32:33], v[150:151], -v[169:170]
	;; [unrolled: 2-line block ×6, first 2 shown]
	v_add_f64 v[167:168], v[128:129], v[144:145]
	v_add_f64 v[32:33], v[144:145], v[148:149]
	;; [unrolled: 1-line block ×3, first 2 shown]
	v_add_f64 v[169:170], v[146:147], -v[150:151]
	v_add_f64 v[146:147], v[130:131], v[146:147]
	v_add_f64 v[118:119], v[136:137], v[140:141]
	v_add_f64 v[134:135], v[138:139], v[142:143]
	v_add_f64 v[171:172], v[144:145], -v[148:149]
	v_add_f64 v[144:145], v[124:125], v[136:137]
	v_add_f64 v[163:164], v[38:39], v[36:37]
	v_add_f64 v[165:166], v[132:133], v[116:117]
	v_add_f64 v[173:174], v[126:127], v[138:139]
	v_add_f64 v[175:176], v[138:139], -v[142:143]
	v_fma_f64 v[32:33], v[32:33], -0.5, v[128:129]
	v_fma_f64 v[34:35], v[34:35], -0.5, v[130:131]
	v_add_f64 v[128:129], v[38:39], -v[36:37]
	v_add_f64 v[130:131], v[136:137], -v[140:141]
	v_fma_f64 v[177:178], v[118:119], -0.5, v[124:125]
	v_add_f64 v[124:125], v[132:133], -v[116:117]
	v_fma_f64 v[179:180], v[134:135], -0.5, v[126:127]
	v_add_f64 v[134:135], v[167:168], v[148:149]
	v_fma_f64 v[118:119], v[163:164], -0.5, v[120:121]
	v_fma_f64 v[126:127], v[165:166], -0.5, v[122:123]
	v_add_f64 v[136:137], v[146:147], v[150:151]
	v_add_f64 v[138:139], v[144:145], v[140:141]
	;; [unrolled: 1-line block ×3, first 2 shown]
	v_fma_f64 v[142:143], v[169:170], s[8:9], v[32:33]
	v_fma_f64 v[146:147], v[169:170], s[0:1], v[32:33]
	;; [unrolled: 1-line block ×10, first 2 shown]
	ds_store_b128 v158, v[134:137]
	ds_store_b128 v158, v[142:145] offset:64
	ds_store_b128 v158, v[146:149] offset:128
	ds_store_b128 v157, v[138:141]
	ds_store_b128 v157, v[163:166] offset:64
	ds_store_b128 v157, v[167:170] offset:128
	s_and_saveexec_b32 s8, vcc_lo
	s_cbranch_execz .LBB0_13
; %bb.12:
	v_add_f64 v[122:123], v[132:133], v[122:123]
	v_add_f64 v[120:121], v[38:39], v[120:121]
	v_mul_f64 v[128:129], v[128:129], s[0:1]
	v_mul_f64 v[124:125], v[124:125], s[0:1]
	s_delay_alu instid0(VALU_DEP_4) | instskip(NEXT) | instid1(VALU_DEP_4)
	v_add_f64 v[122:123], v[116:117], v[122:123]
	v_add_f64 v[120:121], v[120:121], v[36:37]
	s_delay_alu instid0(VALU_DEP_4) | instskip(NEXT) | instid1(VALU_DEP_4)
	v_add_f64 v[38:39], v[128:129], v[126:127]
	v_add_f64 v[36:37], v[118:119], -v[124:125]
	v_mul_u32_u24_e32 v116, 12, v156
	s_delay_alu instid0(VALU_DEP_1) | instskip(NEXT) | instid1(VALU_DEP_1)
	v_or_b32_e32 v116, v116, v155
	v_lshlrev_b32_e32 v116, 4, v116
	ds_store_b128 v116, v[120:123]
	ds_store_b128 v116, v[36:39] offset:64
	ds_store_b128 v116, v[32:35] offset:128
.LBB0_13:
	s_or_b32 exec_lo, exec_lo, s8
	s_waitcnt lgkmcnt(0)
	s_barrier
	buffer_gl0_inv
	ds_load_b128 v[36:39], v154 offset:2304
	ds_load_b128 v[116:119], v154 offset:4608
	ds_load_b128 v[120:123], v154 offset:9216
	ds_load_b128 v[124:127], v154 offset:13824
	ds_load_b128 v[128:131], v154 offset:11520
	ds_load_b128 v[132:135], v154 offset:6912
	ds_load_b128 v[136:139], v154 offset:16128
	s_mov_b32 s0, 0x667f3bcd
	s_mov_b32 s1, 0xbfe6a09e
	;; [unrolled: 1-line block ×4, first 2 shown]
	s_waitcnt lgkmcnt(6)
	v_mul_f64 v[140:141], v[50:51], v[38:39]
	v_mul_f64 v[50:51], v[50:51], v[36:37]
	s_waitcnt lgkmcnt(5)
	v_mul_f64 v[142:143], v[46:47], v[118:119]
	v_mul_f64 v[46:47], v[46:47], v[116:117]
	;; [unrolled: 3-line block ×7, first 2 shown]
	v_fma_f64 v[140:141], v[48:49], v[36:37], v[140:141]
	v_fma_f64 v[48:49], v[48:49], v[38:39], -v[50:51]
	v_fma_f64 v[50:51], v[44:45], v[116:117], v[142:143]
	v_fma_f64 v[44:45], v[44:45], v[118:119], -v[46:47]
	;; [unrolled: 2-line block ×7, first 2 shown]
	ds_load_b128 v[36:39], v154
	s_waitcnt lgkmcnt(0)
	s_barrier
	buffer_gl0_inv
	v_add_f64 v[46:47], v[36:37], -v[46:47]
	v_add_f64 v[40:41], v[38:39], -v[40:41]
	;; [unrolled: 1-line block ×8, first 2 shown]
	v_fma_f64 v[36:37], v[36:37], 2.0, -v[46:47]
	v_fma_f64 v[38:39], v[38:39], 2.0, -v[40:41]
	;; [unrolled: 1-line block ×6, first 2 shown]
	v_add_f64 v[116:117], v[46:47], v[52:53]
	v_add_f64 v[118:119], v[40:41], -v[42:43]
	v_fma_f64 v[42:43], v[66:67], 2.0, -v[62:63]
	v_fma_f64 v[52:53], v[60:61], 2.0, -v[56:57]
	v_add_f64 v[56:57], v[54:55], v[56:57]
	v_add_f64 v[60:61], v[58:59], -v[62:63]
	v_add_f64 v[62:63], v[36:37], -v[50:51]
	;; [unrolled: 1-line block ×3, first 2 shown]
	v_fma_f64 v[120:121], v[46:47], 2.0, -v[116:117]
	v_fma_f64 v[122:123], v[40:41], 2.0, -v[118:119]
	v_add_f64 v[40:41], v[64:65], -v[42:43]
	v_add_f64 v[42:43], v[48:49], -v[52:53]
	v_fma_f64 v[50:51], v[54:55], 2.0, -v[56:57]
	v_fma_f64 v[52:53], v[58:59], 2.0, -v[60:61]
	v_fma_f64 v[44:45], v[56:57], s[8:9], v[116:117]
	v_fma_f64 v[46:47], v[60:61], s[8:9], v[118:119]
	v_fma_f64 v[124:125], v[36:37], 2.0, -v[62:63]
	v_fma_f64 v[126:127], v[38:39], 2.0, -v[66:67]
	;; [unrolled: 1-line block ×4, first 2 shown]
	v_fma_f64 v[58:59], v[50:51], s[0:1], v[120:121]
	v_fma_f64 v[64:65], v[52:53], s[0:1], v[122:123]
	v_add_f64 v[36:37], v[62:63], v[42:43]
	v_add_f64 v[38:39], v[66:67], -v[40:41]
	v_fma_f64 v[40:41], v[60:61], s[8:9], v[44:45]
	v_fma_f64 v[42:43], v[56:57], s[0:1], v[46:47]
	v_add_f64 v[44:45], v[124:125], -v[54:55]
	v_add_f64 v[46:47], v[126:127], -v[48:49]
	v_fma_f64 v[48:49], v[52:53], s[8:9], v[58:59]
	v_fma_f64 v[50:51], v[50:51], s[0:1], v[64:65]
	v_fma_f64 v[52:53], v[62:63], 2.0, -v[36:37]
	v_fma_f64 v[54:55], v[66:67], 2.0, -v[38:39]
	;; [unrolled: 1-line block ×8, first 2 shown]
	ds_store_b128 v159, v[36:39] offset:1152
	ds_store_b128 v159, v[40:43] offset:1344
	;; [unrolled: 1-line block ×6, first 2 shown]
	ds_store_b128 v159, v[60:63]
	ds_store_b128 v159, v[64:67] offset:192
	s_waitcnt lgkmcnt(0)
	s_barrier
	buffer_gl0_inv
	ds_load_b128 v[48:51], v154
	ds_load_b128 v[44:47], v154 offset:2304
	ds_load_b128 v[60:63], v154 offset:6144
	;; [unrolled: 1-line block ×5, first 2 shown]
	s_and_saveexec_b32 s0, vcc_lo
	s_cbranch_execz .LBB0_15
; %bb.14:
	ds_load_b128 v[36:39], v154 offset:4608
	ds_load_b128 v[40:43], v154 offset:10752
	;; [unrolled: 1-line block ×3, first 2 shown]
.LBB0_15:
	s_or_b32 exec_lo, exec_lo, s0
	s_waitcnt lgkmcnt(3)
	v_mul_f64 v[116:117], v[82:83], v[62:63]
	s_waitcnt lgkmcnt(1)
	v_mul_f64 v[118:119], v[78:79], v[66:67]
	v_mul_f64 v[82:83], v[82:83], v[60:61]
	;; [unrolled: 1-line block ×4, first 2 shown]
	s_waitcnt lgkmcnt(0)
	v_mul_f64 v[122:123], v[86:87], v[58:59]
	v_mul_f64 v[90:91], v[90:91], v[52:53]
	;; [unrolled: 1-line block ×3, first 2 shown]
	s_mov_b32 s0, 0xe8584caa
	s_mov_b32 s1, 0xbfebb67a
	;; [unrolled: 1-line block ×4, first 2 shown]
	s_barrier
	buffer_gl0_inv
	v_fma_f64 v[60:61], v[80:81], v[60:61], v[116:117]
	v_fma_f64 v[64:65], v[76:77], v[64:65], v[118:119]
	v_fma_f64 v[62:63], v[80:81], v[62:63], -v[82:83]
	v_fma_f64 v[66:67], v[76:77], v[66:67], -v[78:79]
	v_fma_f64 v[52:53], v[88:89], v[52:53], v[120:121]
	v_fma_f64 v[56:57], v[84:85], v[56:57], v[122:123]
	v_fma_f64 v[54:55], v[88:89], v[54:55], -v[90:91]
	v_fma_f64 v[58:59], v[84:85], v[58:59], -v[86:87]
	v_add_f64 v[84:85], v[48:49], v[60:61]
	v_add_f64 v[76:77], v[60:61], v[64:65]
	v_add_f64 v[60:61], v[60:61], -v[64:65]
	v_add_f64 v[78:79], v[62:63], v[66:67]
	v_add_f64 v[86:87], v[62:63], -v[66:67]
	v_add_f64 v[80:81], v[52:53], v[56:57]
	v_add_f64 v[62:63], v[50:51], v[62:63]
	;; [unrolled: 1-line block ×5, first 2 shown]
	v_add_f64 v[116:117], v[54:55], -v[58:59]
	v_add_f64 v[118:119], v[52:53], -v[56:57]
	v_fma_f64 v[76:77], v[76:77], -0.5, v[48:49]
	v_fma_f64 v[78:79], v[78:79], -0.5, v[50:51]
	;; [unrolled: 1-line block ×3, first 2 shown]
	v_add_f64 v[44:45], v[84:85], v[64:65]
	v_fma_f64 v[82:83], v[82:83], -0.5, v[46:47]
	v_add_f64 v[46:47], v[62:63], v[66:67]
	v_add_f64 v[48:49], v[88:89], v[56:57]
	;; [unrolled: 1-line block ×3, first 2 shown]
	v_fma_f64 v[52:53], v[86:87], s[0:1], v[76:77]
	v_fma_f64 v[56:57], v[86:87], s[8:9], v[76:77]
	v_fma_f64 v[54:55], v[60:61], s[8:9], v[78:79]
	v_fma_f64 v[58:59], v[60:61], s[0:1], v[78:79]
	v_fma_f64 v[60:61], v[116:117], s[0:1], v[80:81]
	v_fma_f64 v[64:65], v[116:117], s[8:9], v[80:81]
	v_fma_f64 v[62:63], v[118:119], s[8:9], v[82:83]
	v_fma_f64 v[66:67], v[118:119], s[0:1], v[82:83]
	ds_store_b128 v161, v[44:47]
	ds_store_b128 v161, v[52:55] offset:1536
	ds_store_b128 v161, v[56:59] offset:3072
	ds_store_b128 v162, v[48:51]
	ds_store_b128 v162, v[60:63] offset:1536
	ds_store_b128 v162, v[64:67] offset:3072
	s_and_saveexec_b32 s10, vcc_lo
	s_cbranch_execz .LBB0_17
; %bb.16:
	v_mul_f64 v[44:45], v[74:75], v[40:41]
	v_mul_f64 v[46:47], v[70:71], v[32:33]
	;; [unrolled: 1-line block ×4, first 2 shown]
	s_delay_alu instid0(VALU_DEP_4) | instskip(NEXT) | instid1(VALU_DEP_4)
	v_fma_f64 v[42:43], v[72:73], v[42:43], -v[44:45]
	v_fma_f64 v[34:35], v[68:69], v[34:35], -v[46:47]
	s_delay_alu instid0(VALU_DEP_4) | instskip(NEXT) | instid1(VALU_DEP_4)
	v_fma_f64 v[40:41], v[72:73], v[40:41], v[48:49]
	v_fma_f64 v[32:33], v[68:69], v[32:33], v[50:51]
	s_delay_alu instid0(VALU_DEP_4) | instskip(NEXT) | instid1(VALU_DEP_4)
	v_add_f64 v[50:51], v[42:43], v[38:39]
	v_add_f64 v[44:45], v[42:43], v[34:35]
	v_add_f64 v[52:53], v[42:43], -v[34:35]
	s_delay_alu instid0(VALU_DEP_4)
	v_add_f64 v[46:47], v[40:41], v[32:33]
	v_add_f64 v[48:49], v[40:41], -v[32:33]
	v_add_f64 v[40:41], v[40:41], v[36:37]
	v_add_f64 v[34:35], v[34:35], v[50:51]
	v_fma_f64 v[44:45], v[44:45], -0.5, v[38:39]
	v_fma_f64 v[36:37], v[46:47], -0.5, v[36:37]
	s_delay_alu instid0(VALU_DEP_4) | instskip(NEXT) | instid1(VALU_DEP_3)
	v_add_f64 v[32:33], v[40:41], v[32:33]
	v_fma_f64 v[42:43], v[48:49], s[8:9], v[44:45]
	v_fma_f64 v[38:39], v[48:49], s[0:1], v[44:45]
	s_delay_alu instid0(VALU_DEP_4)
	v_fma_f64 v[40:41], v[52:53], s[0:1], v[36:37]
	v_fma_f64 v[36:37], v[52:53], s[8:9], v[36:37]
	v_lshlrev_b32_e32 v44, 4, v160
	ds_store_b128 v44, v[32:35] offset:13824
	ds_store_b128 v44, v[40:43] offset:15360
	;; [unrolled: 1-line block ×3, first 2 shown]
.LBB0_17:
	s_or_b32 exec_lo, exec_lo, s10
	s_waitcnt lgkmcnt(0)
	s_barrier
	buffer_gl0_inv
	ds_load_b128 v[32:35], v154 offset:4608
	ds_load_b128 v[36:39], v154 offset:9216
	;; [unrolled: 1-line block ×6, first 2 shown]
	s_mul_i32 s0, s5, 0x1200
	s_mul_hi_u32 s1, s4, 0x1200
	s_waitcnt lgkmcnt(5)
	v_mul_f64 v[56:57], v[94:95], v[34:35]
	v_mul_f64 v[58:59], v[94:95], v[32:33]
	s_waitcnt lgkmcnt(4)
	v_mul_f64 v[60:61], v[98:99], v[38:39]
	v_mul_f64 v[62:63], v[98:99], v[36:37]
	;; [unrolled: 3-line block ×6, first 2 shown]
	v_fma_f64 v[56:57], v[92:93], v[32:33], v[56:57]
	v_fma_f64 v[58:59], v[92:93], v[34:35], -v[58:59]
	v_fma_f64 v[60:61], v[96:97], v[36:37], v[60:61]
	v_fma_f64 v[62:63], v[96:97], v[38:39], -v[62:63]
	;; [unrolled: 2-line block ×6, first 2 shown]
	ds_load_b128 v[32:35], v154
	ds_load_b128 v[36:39], v154 offset:2304
	s_waitcnt lgkmcnt(1)
	v_add_f64 v[60:61], v[32:33], -v[60:61]
	v_add_f64 v[62:63], v[34:35], -v[62:63]
	;; [unrolled: 1-line block ×4, first 2 shown]
	s_waitcnt lgkmcnt(0)
	v_add_f64 v[64:65], v[36:37], -v[48:49]
	v_add_f64 v[66:67], v[38:39], -v[50:51]
	;; [unrolled: 1-line block ×4, first 2 shown]
	v_fma_f64 v[68:69], v[32:33], 2.0, -v[60:61]
	v_fma_f64 v[70:71], v[34:35], 2.0, -v[62:63]
	;; [unrolled: 1-line block ×4, first 2 shown]
	v_add_f64 v[32:33], v[60:61], v[42:43]
	v_add_f64 v[34:35], v[62:63], -v[40:41]
	v_fma_f64 v[72:73], v[36:37], 2.0, -v[64:65]
	v_fma_f64 v[74:75], v[38:39], 2.0, -v[66:67]
	;; [unrolled: 1-line block ×4, first 2 shown]
	v_add_f64 v[36:37], v[64:65], v[50:51]
	v_add_f64 v[38:39], v[66:67], -v[48:49]
	v_add_f64 v[40:41], v[68:69], -v[52:53]
	;; [unrolled: 1-line block ×3, first 2 shown]
	v_fma_f64 v[48:49], v[60:61], 2.0, -v[32:33]
	v_fma_f64 v[50:51], v[62:63], 2.0, -v[34:35]
	v_add_f64 v[44:45], v[72:73], -v[44:45]
	v_add_f64 v[46:47], v[74:75], -v[46:47]
	v_fma_f64 v[52:53], v[64:65], 2.0, -v[36:37]
	v_fma_f64 v[54:55], v[66:67], 2.0, -v[38:39]
	v_mad_u64_u32 v[64:65], null, s6, v152, 0
	v_mad_u64_u32 v[66:67], null, s4, v153, 0
	s_delay_alu instid0(VALU_DEP_1) | instskip(NEXT) | instid1(VALU_DEP_1)
	v_mad_u64_u32 v[84:85], null, s7, v152, v[65:66]
	v_mov_b32_e32 v65, v84
	s_delay_alu instid0(VALU_DEP_1)
	v_lshlrev_b64 v[64:65], 4, v[64:65]
	v_fma_f64 v[56:57], v[68:69], 2.0, -v[40:41]
	v_fma_f64 v[58:59], v[70:71], 2.0, -v[42:43]
	;; [unrolled: 1-line block ×4, first 2 shown]
	ds_store_b128 v154, v[32:35] offset:13824
	ds_store_b128 v154, v[36:39] offset:16128
	;; [unrolled: 1-line block ×6, first 2 shown]
	ds_store_b128 v154, v[56:59]
	ds_store_b128 v154, v[60:63] offset:2304
	s_waitcnt lgkmcnt(0)
	s_barrier
	buffer_gl0_inv
	ds_load_b128 v[32:35], v154
	ds_load_b128 v[36:39], v154 offset:4608
	ds_load_b128 v[40:43], v154 offset:9216
	;; [unrolled: 1-line block ×7, first 2 shown]
	s_waitcnt lgkmcnt(7)
	v_mul_f64 v[68:69], v[2:3], v[34:35]
	v_mul_f64 v[2:3], v[2:3], v[32:33]
	s_waitcnt lgkmcnt(6)
	v_mul_f64 v[70:71], v[18:19], v[38:39]
	v_mul_f64 v[18:19], v[18:19], v[36:37]
	;; [unrolled: 3-line block ×8, first 2 shown]
	v_fma_f64 v[32:33], v[0:1], v[32:33], v[68:69]
	v_fma_f64 v[2:3], v[0:1], v[34:35], -v[2:3]
	v_fma_f64 v[34:35], v[16:17], v[36:37], v[70:71]
	v_fma_f64 v[16:17], v[16:17], v[38:39], -v[18:19]
	;; [unrolled: 2-line block ×8, first 2 shown]
	v_mad_u64_u32 v[85:86], null, s5, v153, v[67:68]
	v_add_co_u32 v4, vcc_lo, s2, v64
	v_add_co_ci_u32_e32 v5, vcc_lo, s3, v65, vcc_lo
	s_mul_i32 s2, s4, 0x1200
	s_add_i32 s3, s1, s0
	s_delay_alu instid0(VALU_DEP_3) | instskip(SKIP_2) | instid1(VALU_DEP_1)
	v_mov_b32_e32 v67, v85
	s_mov_b32 s0, 0x1c71c71c
	s_mov_b32 s1, 0x3f4c71c7
	v_lshlrev_b64 v[0:1], 4, v[66:67]
	s_delay_alu instid0(VALU_DEP_1) | instskip(NEXT) | instid1(VALU_DEP_2)
	v_add_co_u32 v48, vcc_lo, v4, v0
	v_add_co_ci_u32_e32 v49, vcc_lo, v5, v1, vcc_lo
	v_mul_f64 v[0:1], v[32:33], s[0:1]
	s_delay_alu instid0(VALU_DEP_3) | instskip(NEXT) | instid1(VALU_DEP_3)
	v_add_co_u32 v50, vcc_lo, v48, s2
	v_add_co_ci_u32_e32 v51, vcc_lo, s3, v49, vcc_lo
	v_mul_f64 v[2:3], v[2:3], s[0:1]
	v_mul_f64 v[4:5], v[34:35], s[0:1]
	v_mul_f64 v[6:7], v[16:17], s[0:1]
	v_mul_f64 v[8:9], v[18:19], s[0:1]
	v_mul_f64 v[10:11], v[10:11], s[0:1]
	v_add_co_u32 v52, vcc_lo, v50, s2
	v_mul_f64 v[12:13], v[36:37], s[0:1]
	v_mul_f64 v[14:15], v[14:15], s[0:1]
	;; [unrolled: 1-line block ×4, first 2 shown]
	v_add_co_ci_u32_e32 v53, vcc_lo, s3, v51, vcc_lo
	v_mul_f64 v[20:21], v[42:43], s[0:1]
	v_mul_f64 v[22:23], v[22:23], s[0:1]
	;; [unrolled: 1-line block ×6, first 2 shown]
	v_add_co_u32 v32, vcc_lo, v52, s2
	v_add_co_ci_u32_e32 v33, vcc_lo, s3, v53, vcc_lo
	s_mul_i32 s0, s5, 0xffffd300
	s_delay_alu instid0(SALU_CYCLE_1) | instskip(NEXT) | instid1(VALU_DEP_1)
	s_sub_i32 s0, s0, s4
	v_mad_u64_u32 v[34:35], null, 0xffffd300, s4, v[32:33]
	s_delay_alu instid0(VALU_DEP_1) | instskip(NEXT) | instid1(VALU_DEP_2)
	v_add_nc_u32_e32 v35, s0, v35
	v_add_co_u32 v36, vcc_lo, v34, s2
	s_delay_alu instid0(VALU_DEP_2) | instskip(NEXT) | instid1(VALU_DEP_2)
	v_add_co_ci_u32_e32 v37, vcc_lo, s3, v35, vcc_lo
	v_add_co_u32 v38, vcc_lo, v36, s2
	s_delay_alu instid0(VALU_DEP_2) | instskip(NEXT) | instid1(VALU_DEP_2)
	v_add_co_ci_u32_e32 v39, vcc_lo, s3, v37, vcc_lo
	v_add_co_u32 v40, vcc_lo, v38, s2
	s_delay_alu instid0(VALU_DEP_2)
	v_add_co_ci_u32_e32 v41, vcc_lo, s3, v39, vcc_lo
	s_clause 0x4
	global_store_b128 v[48:49], v[0:3], off
	global_store_b128 v[50:51], v[4:7], off
	;; [unrolled: 1-line block ×8, first 2 shown]
.LBB0_18:
	s_nop 0
	s_sendmsg sendmsg(MSG_DEALLOC_VGPRS)
	s_endpgm
	.section	.rodata,"a",@progbits
	.p2align	6, 0x0
	.amdhsa_kernel bluestein_single_back_len1152_dim1_dp_op_CI_CI
		.amdhsa_group_segment_fixed_size 18432
		.amdhsa_private_segment_fixed_size 0
		.amdhsa_kernarg_size 104
		.amdhsa_user_sgpr_count 15
		.amdhsa_user_sgpr_dispatch_ptr 0
		.amdhsa_user_sgpr_queue_ptr 0
		.amdhsa_user_sgpr_kernarg_segment_ptr 1
		.amdhsa_user_sgpr_dispatch_id 0
		.amdhsa_user_sgpr_private_segment_size 0
		.amdhsa_wavefront_size32 1
		.amdhsa_uses_dynamic_stack 0
		.amdhsa_enable_private_segment 0
		.amdhsa_system_sgpr_workgroup_id_x 1
		.amdhsa_system_sgpr_workgroup_id_y 0
		.amdhsa_system_sgpr_workgroup_id_z 0
		.amdhsa_system_sgpr_workgroup_info 0
		.amdhsa_system_vgpr_workitem_id 0
		.amdhsa_next_free_vgpr 217
		.amdhsa_next_free_sgpr 20
		.amdhsa_reserve_vcc 1
		.amdhsa_float_round_mode_32 0
		.amdhsa_float_round_mode_16_64 0
		.amdhsa_float_denorm_mode_32 3
		.amdhsa_float_denorm_mode_16_64 3
		.amdhsa_dx10_clamp 1
		.amdhsa_ieee_mode 1
		.amdhsa_fp16_overflow 0
		.amdhsa_workgroup_processor_mode 1
		.amdhsa_memory_ordered 1
		.amdhsa_forward_progress 0
		.amdhsa_shared_vgpr_count 0
		.amdhsa_exception_fp_ieee_invalid_op 0
		.amdhsa_exception_fp_denorm_src 0
		.amdhsa_exception_fp_ieee_div_zero 0
		.amdhsa_exception_fp_ieee_overflow 0
		.amdhsa_exception_fp_ieee_underflow 0
		.amdhsa_exception_fp_ieee_inexact 0
		.amdhsa_exception_int_div_zero 0
	.end_amdhsa_kernel
	.text
.Lfunc_end0:
	.size	bluestein_single_back_len1152_dim1_dp_op_CI_CI, .Lfunc_end0-bluestein_single_back_len1152_dim1_dp_op_CI_CI
                                        ; -- End function
	.section	.AMDGPU.csdata,"",@progbits
; Kernel info:
; codeLenInByte = 10244
; NumSgprs: 22
; NumVgprs: 217
; ScratchSize: 0
; MemoryBound: 0
; FloatMode: 240
; IeeeMode: 1
; LDSByteSize: 18432 bytes/workgroup (compile time only)
; SGPRBlocks: 2
; VGPRBlocks: 27
; NumSGPRsForWavesPerEU: 22
; NumVGPRsForWavesPerEU: 217
; Occupancy: 6
; WaveLimiterHint : 1
; COMPUTE_PGM_RSRC2:SCRATCH_EN: 0
; COMPUTE_PGM_RSRC2:USER_SGPR: 15
; COMPUTE_PGM_RSRC2:TRAP_HANDLER: 0
; COMPUTE_PGM_RSRC2:TGID_X_EN: 1
; COMPUTE_PGM_RSRC2:TGID_Y_EN: 0
; COMPUTE_PGM_RSRC2:TGID_Z_EN: 0
; COMPUTE_PGM_RSRC2:TIDIG_COMP_CNT: 0
	.text
	.p2alignl 7, 3214868480
	.fill 96, 4, 3214868480
	.type	__hip_cuid_94c871e93500e2c1,@object ; @__hip_cuid_94c871e93500e2c1
	.section	.bss,"aw",@nobits
	.globl	__hip_cuid_94c871e93500e2c1
__hip_cuid_94c871e93500e2c1:
	.byte	0                               ; 0x0
	.size	__hip_cuid_94c871e93500e2c1, 1

	.ident	"AMD clang version 19.0.0git (https://github.com/RadeonOpenCompute/llvm-project roc-6.4.0 25133 c7fe45cf4b819c5991fe208aaa96edf142730f1d)"
	.section	".note.GNU-stack","",@progbits
	.addrsig
	.addrsig_sym __hip_cuid_94c871e93500e2c1
	.amdgpu_metadata
---
amdhsa.kernels:
  - .args:
      - .actual_access:  read_only
        .address_space:  global
        .offset:         0
        .size:           8
        .value_kind:     global_buffer
      - .actual_access:  read_only
        .address_space:  global
        .offset:         8
        .size:           8
        .value_kind:     global_buffer
      - .actual_access:  read_only
        .address_space:  global
        .offset:         16
        .size:           8
        .value_kind:     global_buffer
      - .actual_access:  read_only
        .address_space:  global
        .offset:         24
        .size:           8
        .value_kind:     global_buffer
      - .actual_access:  read_only
        .address_space:  global
        .offset:         32
        .size:           8
        .value_kind:     global_buffer
      - .offset:         40
        .size:           8
        .value_kind:     by_value
      - .address_space:  global
        .offset:         48
        .size:           8
        .value_kind:     global_buffer
      - .address_space:  global
        .offset:         56
        .size:           8
        .value_kind:     global_buffer
      - .address_space:  global
        .offset:         64
        .size:           8
        .value_kind:     global_buffer
      - .address_space:  global
        .offset:         72
        .size:           8
        .value_kind:     global_buffer
      - .offset:         80
        .size:           4
        .value_kind:     by_value
      - .address_space:  global
        .offset:         88
        .size:           8
        .value_kind:     global_buffer
      - .address_space:  global
        .offset:         96
        .size:           8
        .value_kind:     global_buffer
    .group_segment_fixed_size: 18432
    .kernarg_segment_align: 8
    .kernarg_segment_size: 104
    .language:       OpenCL C
    .language_version:
      - 2
      - 0
    .max_flat_workgroup_size: 144
    .name:           bluestein_single_back_len1152_dim1_dp_op_CI_CI
    .private_segment_fixed_size: 0
    .sgpr_count:     22
    .sgpr_spill_count: 0
    .symbol:         bluestein_single_back_len1152_dim1_dp_op_CI_CI.kd
    .uniform_work_group_size: 1
    .uses_dynamic_stack: false
    .vgpr_count:     217
    .vgpr_spill_count: 0
    .wavefront_size: 32
    .workgroup_processor_mode: 1
amdhsa.target:   amdgcn-amd-amdhsa--gfx1100
amdhsa.version:
  - 1
  - 2
...

	.end_amdgpu_metadata
